;; amdgpu-corpus repo=zjin-lcf/HeCBench kind=compiled arch=gfx950 opt=O3
	.amdgcn_target "amdgcn-amd-amdhsa--gfx950"
	.amdhsa_code_object_version 6
	.text
	.protected	_Z6filterPiS_PKii       ; -- Begin function _Z6filterPiS_PKii
	.globl	_Z6filterPiS_PKii
	.p2align	8
	.type	_Z6filterPiS_PKii,@function
_Z6filterPiS_PKii:                      ; @_Z6filterPiS_PKii
; %bb.0:
	s_load_dword s3, s[0:1], 0x2c
	v_cmp_eq_u32_e64 s[4:5], 0, v0
	s_and_saveexec_b64 s[6:7], s[4:5]
; %bb.1:
	v_mov_b32_e32 v1, 0
	ds_write_b32 v1, v1
; %bb.2:
	s_or_b64 exec, exec, s[6:7]
	s_load_dword s6, s[0:1], 0x18
	s_waitcnt lgkmcnt(0)
	s_and_b32 s3, 0xffff, s3
	s_mul_i32 s2, s2, s3
	v_add_u32_e32 v0, s2, v0
	v_cmp_gt_i32_e32 vcc, s6, v0
	s_barrier
                                        ; implicit-def: $vgpr1
                                        ; implicit-def: $vgpr2
	s_and_saveexec_b64 s[6:7], vcc
	s_cbranch_execz .LBB0_8
; %bb.3:
	s_load_dwordx2 s[2:3], s[0:1], 0x10
	v_ashrrev_i32_e32 v1, 31, v0
                                        ; implicit-def: $vgpr2
	s_waitcnt lgkmcnt(0)
	v_lshl_add_u64 v[0:1], v[0:1], 2, s[2:3]
	global_load_dword v1, v[0:1], off
	s_waitcnt vmcnt(0)
	v_cmp_lt_i32_e64 s[2:3], 0, v1
	s_and_saveexec_b64 s[8:9], s[2:3]
	s_cbranch_execz .LBB0_7
; %bb.4:
	s_mov_b64 s[12:13], exec
	v_mbcnt_lo_u32_b32 v0, s12, 0
	v_mbcnt_hi_u32_b32 v0, s13, v0
	v_cmp_eq_u32_e64 s[2:3], 0, v0
                                        ; implicit-def: $vgpr2
	s_and_saveexec_b64 s[10:11], s[2:3]
; %bb.5:
	s_bcnt1_i32_b64 s2, s[12:13]
	v_mov_b32_e32 v2, 0
	v_mov_b32_e32 v3, s2
	ds_add_rtn_u32 v2, v2, v3
; %bb.6:
	s_or_b64 exec, exec, s[10:11]
	s_waitcnt lgkmcnt(0)
	v_readfirstlane_b32 s2, v2
	s_nop 1
	v_add_u32_e32 v2, s2, v0
.LBB0_7:
	s_or_b64 exec, exec, s[8:9]
.LBB0_8:
	s_or_b64 exec, exec, s[6:7]
	s_load_dwordx2 s[6:7], s[0:1], 0x0
	s_waitcnt lgkmcnt(0)
	s_barrier
	s_and_saveexec_b64 s[8:9], s[4:5]
	s_cbranch_execz .LBB0_12
; %bb.9:
	v_mov_b32_e32 v0, 0
	ds_read_b32 v3, v0
	s_mov_b64 s[4:5], exec
	v_mbcnt_lo_u32_b32 v4, s4, 0
	v_mbcnt_hi_u32_b32 v4, s5, v4
	v_cmp_eq_u32_e64 s[2:3], 0, v4
                                        ; implicit-def: $vgpr5
	s_and_saveexec_b64 s[10:11], s[2:3]
	s_cbranch_execz .LBB0_11
; %bb.10:
	s_load_dwordx2 s[0:1], s[0:1], 0x8
	s_bcnt1_i32_b64 s2, s[4:5]
	s_waitcnt lgkmcnt(0)
	v_mul_lo_u32 v5, v3, s2
	global_atomic_add v5, v0, v5, s[0:1] sc0
.LBB0_11:
	s_or_b64 exec, exec, s[10:11]
	s_waitcnt vmcnt(0)
	v_readfirstlane_b32 s0, v5
	s_waitcnt lgkmcnt(0)
	v_mul_lo_u32 v3, v3, v4
	v_add_u32_e32 v3, s0, v3
	ds_write_b32 v0, v3
.LBB0_12:
	s_or_b64 exec, exec, s[8:9]
	v_cmp_lt_i32_e64 s[0:1], 0, v1
	s_and_b64 s[2:3], vcc, s[0:1]
	s_waitcnt lgkmcnt(0)
	s_barrier
	s_and_saveexec_b64 s[0:1], s[2:3]
	s_cbranch_execz .LBB0_14
; %bb.13:
	v_mov_b32_e32 v0, 0
	ds_read_b32 v0, v0
	s_waitcnt lgkmcnt(0)
	v_add_u32_e32 v2, v0, v2
	v_ashrrev_i32_e32 v3, 31, v2
	v_lshl_add_u64 v[2:3], v[2:3], 2, s[6:7]
	global_store_dword v[2:3], v1, off
.LBB0_14:
	s_or_b64 exec, exec, s[0:1]
	s_barrier
	s_endpgm
	.section	.rodata,"a",@progbits
	.p2align	6, 0x0
	.amdhsa_kernel _Z6filterPiS_PKii
		.amdhsa_group_segment_fixed_size 4
		.amdhsa_private_segment_fixed_size 0
		.amdhsa_kernarg_size 288
		.amdhsa_user_sgpr_count 2
		.amdhsa_user_sgpr_dispatch_ptr 0
		.amdhsa_user_sgpr_queue_ptr 0
		.amdhsa_user_sgpr_kernarg_segment_ptr 1
		.amdhsa_user_sgpr_dispatch_id 0
		.amdhsa_user_sgpr_kernarg_preload_length 0
		.amdhsa_user_sgpr_kernarg_preload_offset 0
		.amdhsa_user_sgpr_private_segment_size 0
		.amdhsa_uses_dynamic_stack 0
		.amdhsa_enable_private_segment 0
		.amdhsa_system_sgpr_workgroup_id_x 1
		.amdhsa_system_sgpr_workgroup_id_y 0
		.amdhsa_system_sgpr_workgroup_id_z 0
		.amdhsa_system_sgpr_workgroup_info 0
		.amdhsa_system_vgpr_workitem_id 0
		.amdhsa_next_free_vgpr 6
		.amdhsa_next_free_sgpr 14
		.amdhsa_accum_offset 8
		.amdhsa_reserve_vcc 1
		.amdhsa_float_round_mode_32 0
		.amdhsa_float_round_mode_16_64 0
		.amdhsa_float_denorm_mode_32 3
		.amdhsa_float_denorm_mode_16_64 3
		.amdhsa_dx10_clamp 1
		.amdhsa_ieee_mode 1
		.amdhsa_fp16_overflow 0
		.amdhsa_tg_split 0
		.amdhsa_exception_fp_ieee_invalid_op 0
		.amdhsa_exception_fp_denorm_src 0
		.amdhsa_exception_fp_ieee_div_zero 0
		.amdhsa_exception_fp_ieee_overflow 0
		.amdhsa_exception_fp_ieee_underflow 0
		.amdhsa_exception_fp_ieee_inexact 0
		.amdhsa_exception_int_div_zero 0
	.end_amdhsa_kernel
	.text
.Lfunc_end0:
	.size	_Z6filterPiS_PKii, .Lfunc_end0-_Z6filterPiS_PKii
                                        ; -- End function
	.set _Z6filterPiS_PKii.num_vgpr, 6
	.set _Z6filterPiS_PKii.num_agpr, 0
	.set _Z6filterPiS_PKii.numbered_sgpr, 14
	.set _Z6filterPiS_PKii.num_named_barrier, 0
	.set _Z6filterPiS_PKii.private_seg_size, 0
	.set _Z6filterPiS_PKii.uses_vcc, 1
	.set _Z6filterPiS_PKii.uses_flat_scratch, 0
	.set _Z6filterPiS_PKii.has_dyn_sized_stack, 0
	.set _Z6filterPiS_PKii.has_recursion, 0
	.set _Z6filterPiS_PKii.has_indirect_call, 0
	.section	.AMDGPU.csdata,"",@progbits
; Kernel info:
; codeLenInByte = 436
; TotalNumSgprs: 20
; NumVgprs: 6
; NumAgprs: 0
; TotalNumVgprs: 6
; ScratchSize: 0
; MemoryBound: 0
; FloatMode: 240
; IeeeMode: 1
; LDSByteSize: 4 bytes/workgroup (compile time only)
; SGPRBlocks: 2
; VGPRBlocks: 0
; NumSGPRsForWavesPerEU: 20
; NumVGPRsForWavesPerEU: 6
; AccumOffset: 8
; Occupancy: 8
; WaveLimiterHint : 0
; COMPUTE_PGM_RSRC2:SCRATCH_EN: 0
; COMPUTE_PGM_RSRC2:USER_SGPR: 2
; COMPUTE_PGM_RSRC2:TRAP_HANDLER: 0
; COMPUTE_PGM_RSRC2:TGID_X_EN: 1
; COMPUTE_PGM_RSRC2:TGID_Y_EN: 0
; COMPUTE_PGM_RSRC2:TGID_Z_EN: 0
; COMPUTE_PGM_RSRC2:TIDIG_COMP_CNT: 0
; COMPUTE_PGM_RSRC3_GFX90A:ACCUM_OFFSET: 1
; COMPUTE_PGM_RSRC3_GFX90A:TG_SPLIT: 0
	.text
	.protected	_Z7filter2PiS_PKii      ; -- Begin function _Z7filter2PiS_PKii
	.globl	_Z7filter2PiS_PKii
	.p2align	8
	.type	_Z7filter2PiS_PKii,@function
_Z7filter2PiS_PKii:                     ; @_Z7filter2PiS_PKii
; %bb.0:
	s_load_dword s3, s[0:1], 0x2c
	s_load_dword s4, s[0:1], 0x18
	s_waitcnt lgkmcnt(0)
	s_and_b32 s3, s3, 0xffff
	s_mul_i32 s2, s2, s3
	v_add_u32_e32 v0, s2, v0
	v_cmp_gt_i32_e32 vcc, s4, v0
	s_and_saveexec_b64 s[2:3], vcc
	s_cbranch_execz .LBB1_14
; %bb.1:
	s_load_dwordx2 s[2:3], s[0:1], 0x10
	v_ashrrev_i32_e32 v1, 31, v0
	s_waitcnt lgkmcnt(0)
	v_lshl_add_u64 v[0:1], v[0:1], 2, s[2:3]
	global_load_dword v0, v[0:1], off
	s_waitcnt vmcnt(0)
	v_cmp_lt_i32_e32 vcc, 0, v0
	s_and_b64 exec, exec, vcc
	s_cbranch_execz .LBB1_14
; %bb.2:
	s_load_dwordx2 s[2:3], s[0:1], 0x0
	s_mov_b64 s[4:5], exec
	v_mbcnt_lo_u32_b32 v1, s4, 0
	v_mbcnt_hi_u32_b32 v1, s5, v1
	v_mov_b32_e32 v2, 0
	v_cmp_eq_u32_e32 vcc, 0, v1
	s_and_saveexec_b64 s[6:7], vcc
	s_cbranch_execz .LBB1_6
; %bb.3:
	s_mov_b64 s[10:11], exec
	v_mbcnt_lo_u32_b32 v2, s10, 0
	v_mbcnt_hi_u32_b32 v2, s11, v2
	s_bcnt1_i32_b64 s12, s[4:5]
	v_cmp_eq_u32_e32 vcc, 0, v2
                                        ; implicit-def: $vgpr3
	s_and_saveexec_b64 s[8:9], vcc
	s_cbranch_execz .LBB1_5
; %bb.4:
	s_load_dwordx2 s[0:1], s[0:1], 0x8
	s_bcnt1_i32_b64 s10, s[10:11]
	s_mul_i32 s10, s12, s10
	v_mov_b32_e32 v3, 0
	v_mov_b32_e32 v4, s10
	s_waitcnt lgkmcnt(0)
	global_atomic_add v3, v3, v4, s[0:1] sc0
.LBB1_5:
	s_or_b64 exec, exec, s[8:9]
	s_waitcnt vmcnt(0)
	v_readfirstlane_b32 s0, v3
	s_nop 1
	v_mov_b32_e32 v3, s0
	v_mad_u32_u24 v2, s12, v2, v3
.LBB1_6:
	s_or_b64 exec, exec, s[6:7]
	v_cmp_lt_i64_e64 s[10:11], s[4:5], 0
	s_mov_b32 s8, s5
	s_mov_b64 s[0:1], 0
	s_mov_b64 s[6:7], -1
	s_and_b64 vcc, exec, s[10:11]
	s_cbranch_vccnz .LBB1_9
; %bb.7:
	s_mov_b64 s[0:1], -1
	s_cmp_eq_u64 s[4:5], 0
	s_mov_b64 s[6:7], 0
	s_cbranch_scc0 .LBB1_9
; %bb.8:
	s_mov_b64 s[0:1], 0
.LBB1_9:
	s_mov_b32 s9, 0x4000003f
	s_and_b64 vcc, exec, s[6:7]
	s_cbranch_vccz .LBB1_11
; %bb.10:
	s_cmp_lg_u64 s[4:5], -1
	s_mov_b32 s9, 0
	s_cselect_b64 s[0:1], -1, 0
.LBB1_11:
	s_andn2_b64 vcc, exec, s[0:1]
	s_cbranch_vccnz .LBB1_13
; %bb.12:
	s_mov_b32 s5, 0
	s_cmp_eq_u64 s[4:5], 0
	s_cselect_b32 s0, s8, s4
	s_cselect_b32 s1, 32, 0
	s_and_b32 s4, s0, 0xffff
	s_lshr_b32 s0, s0, 16
	s_cmp_eq_u64 s[4:5], 0
	s_cselect_b32 s0, s0, s4
	s_cselect_b32 s4, 16, 0
	s_or_b32 s1, s4, s1
	s_and_b32 s4, s0, 0xff
	s_lshr_b32 s0, s0, 8
	s_cmp_eq_u64 s[4:5], 0
	s_cselect_b32 s0, s0, s4
	s_cselect_b32 s4, 8, 0
	s_or_b32 s1, s1, s4
	;; [unrolled: 6-line block ×4, first 2 shown]
	s_and_b32 s0, s0, 1
	s_or_b32 s0, s1, s0
	s_xor_b32 s9, s0, 1
.LBB1_13:
	v_mbcnt_lo_u32_b32 v3, -1, 0
	v_mbcnt_hi_u32_b32 v3, -1, v3
	v_and_b32_e32 v3, 64, v3
	v_add_lshl_u32 v3, v3, s9, 2
	ds_bpermute_b32 v2, v3, v2
	s_waitcnt lgkmcnt(0)
	v_add_u32_e32 v2, v2, v1
	v_ashrrev_i32_e32 v3, 31, v2
	v_lshl_add_u64 v[2:3], v[2:3], 2, s[2:3]
	global_store_dword v[2:3], v0, off
.LBB1_14:
	s_endpgm
	.section	.rodata,"a",@progbits
	.p2align	6, 0x0
	.amdhsa_kernel _Z7filter2PiS_PKii
		.amdhsa_group_segment_fixed_size 0
		.amdhsa_private_segment_fixed_size 0
		.amdhsa_kernarg_size 288
		.amdhsa_user_sgpr_count 2
		.amdhsa_user_sgpr_dispatch_ptr 0
		.amdhsa_user_sgpr_queue_ptr 0
		.amdhsa_user_sgpr_kernarg_segment_ptr 1
		.amdhsa_user_sgpr_dispatch_id 0
		.amdhsa_user_sgpr_kernarg_preload_length 0
		.amdhsa_user_sgpr_kernarg_preload_offset 0
		.amdhsa_user_sgpr_private_segment_size 0
		.amdhsa_uses_dynamic_stack 0
		.amdhsa_enable_private_segment 0
		.amdhsa_system_sgpr_workgroup_id_x 1
		.amdhsa_system_sgpr_workgroup_id_y 0
		.amdhsa_system_sgpr_workgroup_id_z 0
		.amdhsa_system_sgpr_workgroup_info 0
		.amdhsa_system_vgpr_workitem_id 0
		.amdhsa_next_free_vgpr 5
		.amdhsa_next_free_sgpr 13
		.amdhsa_accum_offset 8
		.amdhsa_reserve_vcc 1
		.amdhsa_float_round_mode_32 0
		.amdhsa_float_round_mode_16_64 0
		.amdhsa_float_denorm_mode_32 3
		.amdhsa_float_denorm_mode_16_64 3
		.amdhsa_dx10_clamp 1
		.amdhsa_ieee_mode 1
		.amdhsa_fp16_overflow 0
		.amdhsa_tg_split 0
		.amdhsa_exception_fp_ieee_invalid_op 0
		.amdhsa_exception_fp_denorm_src 0
		.amdhsa_exception_fp_ieee_div_zero 0
		.amdhsa_exception_fp_ieee_overflow 0
		.amdhsa_exception_fp_ieee_underflow 0
		.amdhsa_exception_fp_ieee_inexact 0
		.amdhsa_exception_int_div_zero 0
	.end_amdhsa_kernel
	.text
.Lfunc_end1:
	.size	_Z7filter2PiS_PKii, .Lfunc_end1-_Z7filter2PiS_PKii
                                        ; -- End function
	.set _Z7filter2PiS_PKii.num_vgpr, 5
	.set _Z7filter2PiS_PKii.num_agpr, 0
	.set _Z7filter2PiS_PKii.numbered_sgpr, 13
	.set _Z7filter2PiS_PKii.num_named_barrier, 0
	.set _Z7filter2PiS_PKii.private_seg_size, 0
	.set _Z7filter2PiS_PKii.uses_vcc, 1
	.set _Z7filter2PiS_PKii.uses_flat_scratch, 0
	.set _Z7filter2PiS_PKii.has_dyn_sized_stack, 0
	.set _Z7filter2PiS_PKii.has_recursion, 0
	.set _Z7filter2PiS_PKii.has_indirect_call, 0
	.section	.AMDGPU.csdata,"",@progbits
; Kernel info:
; codeLenInByte = 528
; TotalNumSgprs: 19
; NumVgprs: 5
; NumAgprs: 0
; TotalNumVgprs: 5
; ScratchSize: 0
; MemoryBound: 0
; FloatMode: 240
; IeeeMode: 1
; LDSByteSize: 0 bytes/workgroup (compile time only)
; SGPRBlocks: 2
; VGPRBlocks: 0
; NumSGPRsForWavesPerEU: 19
; NumVGPRsForWavesPerEU: 5
; AccumOffset: 8
; Occupancy: 8
; WaveLimiterHint : 0
; COMPUTE_PGM_RSRC2:SCRATCH_EN: 0
; COMPUTE_PGM_RSRC2:USER_SGPR: 2
; COMPUTE_PGM_RSRC2:TRAP_HANDLER: 0
; COMPUTE_PGM_RSRC2:TGID_X_EN: 1
; COMPUTE_PGM_RSRC2:TGID_Y_EN: 0
; COMPUTE_PGM_RSRC2:TGID_Z_EN: 0
; COMPUTE_PGM_RSRC2:TIDIG_COMP_CNT: 0
; COMPUTE_PGM_RSRC3_GFX90A:ACCUM_OFFSET: 1
; COMPUTE_PGM_RSRC3_GFX90A:TG_SPLIT: 0
	.text
	.p2alignl 6, 3212836864
	.fill 256, 4, 3212836864
	.section	.AMDGPU.gpr_maximums,"",@progbits
	.set amdgpu.max_num_vgpr, 0
	.set amdgpu.max_num_agpr, 0
	.set amdgpu.max_num_sgpr, 0
	.text
	.type	__hip_cuid_eacd982a0f218081,@object ; @__hip_cuid_eacd982a0f218081
	.section	.bss,"aw",@nobits
	.globl	__hip_cuid_eacd982a0f218081
__hip_cuid_eacd982a0f218081:
	.byte	0                               ; 0x0
	.size	__hip_cuid_eacd982a0f218081, 1

	.ident	"AMD clang version 22.0.0git (https://github.com/RadeonOpenCompute/llvm-project roc-7.2.4 26084 f58b06dce1f9c15707c5f808fd002e18c2accf7e)"
	.section	".note.GNU-stack","",@progbits
	.addrsig
	.addrsig_sym __hip_cuid_eacd982a0f218081
	.amdgpu_metadata
---
amdhsa.kernels:
  - .agpr_count:     0
    .args:
      - .actual_access:  write_only
        .address_space:  global
        .offset:         0
        .size:           8
        .value_kind:     global_buffer
      - .address_space:  global
        .offset:         8
        .size:           8
        .value_kind:     global_buffer
      - .actual_access:  read_only
        .address_space:  global
        .offset:         16
        .size:           8
        .value_kind:     global_buffer
      - .offset:         24
        .size:           4
        .value_kind:     by_value
      - .offset:         32
        .size:           4
        .value_kind:     hidden_block_count_x
      - .offset:         36
        .size:           4
        .value_kind:     hidden_block_count_y
      - .offset:         40
        .size:           4
        .value_kind:     hidden_block_count_z
      - .offset:         44
        .size:           2
        .value_kind:     hidden_group_size_x
      - .offset:         46
        .size:           2
        .value_kind:     hidden_group_size_y
      - .offset:         48
        .size:           2
        .value_kind:     hidden_group_size_z
      - .offset:         50
        .size:           2
        .value_kind:     hidden_remainder_x
      - .offset:         52
        .size:           2
        .value_kind:     hidden_remainder_y
      - .offset:         54
        .size:           2
        .value_kind:     hidden_remainder_z
      - .offset:         72
        .size:           8
        .value_kind:     hidden_global_offset_x
      - .offset:         80
        .size:           8
        .value_kind:     hidden_global_offset_y
      - .offset:         88
        .size:           8
        .value_kind:     hidden_global_offset_z
      - .offset:         96
        .size:           2
        .value_kind:     hidden_grid_dims
    .group_segment_fixed_size: 4
    .kernarg_segment_align: 8
    .kernarg_segment_size: 288
    .language:       OpenCL C
    .language_version:
      - 2
      - 0
    .max_flat_workgroup_size: 1024
    .name:           _Z6filterPiS_PKii
    .private_segment_fixed_size: 0
    .sgpr_count:     20
    .sgpr_spill_count: 0
    .symbol:         _Z6filterPiS_PKii.kd
    .uniform_work_group_size: 1
    .uses_dynamic_stack: false
    .vgpr_count:     6
    .vgpr_spill_count: 0
    .wavefront_size: 64
  - .agpr_count:     0
    .args:
      - .actual_access:  write_only
        .address_space:  global
        .offset:         0
        .size:           8
        .value_kind:     global_buffer
      - .address_space:  global
        .offset:         8
        .size:           8
        .value_kind:     global_buffer
      - .actual_access:  read_only
        .address_space:  global
        .offset:         16
        .size:           8
        .value_kind:     global_buffer
      - .offset:         24
        .size:           4
        .value_kind:     by_value
      - .offset:         32
        .size:           4
        .value_kind:     hidden_block_count_x
      - .offset:         36
        .size:           4
        .value_kind:     hidden_block_count_y
      - .offset:         40
        .size:           4
        .value_kind:     hidden_block_count_z
      - .offset:         44
        .size:           2
        .value_kind:     hidden_group_size_x
      - .offset:         46
        .size:           2
        .value_kind:     hidden_group_size_y
      - .offset:         48
        .size:           2
        .value_kind:     hidden_group_size_z
      - .offset:         50
        .size:           2
        .value_kind:     hidden_remainder_x
      - .offset:         52
        .size:           2
        .value_kind:     hidden_remainder_y
      - .offset:         54
        .size:           2
        .value_kind:     hidden_remainder_z
      - .offset:         72
        .size:           8
        .value_kind:     hidden_global_offset_x
      - .offset:         80
        .size:           8
        .value_kind:     hidden_global_offset_y
      - .offset:         88
        .size:           8
        .value_kind:     hidden_global_offset_z
      - .offset:         96
        .size:           2
        .value_kind:     hidden_grid_dims
    .group_segment_fixed_size: 0
    .kernarg_segment_align: 8
    .kernarg_segment_size: 288
    .language:       OpenCL C
    .language_version:
      - 2
      - 0
    .max_flat_workgroup_size: 1024
    .name:           _Z7filter2PiS_PKii
    .private_segment_fixed_size: 0
    .sgpr_count:     19
    .sgpr_spill_count: 0
    .symbol:         _Z7filter2PiS_PKii.kd
    .uniform_work_group_size: 1
    .uses_dynamic_stack: false
    .vgpr_count:     5
    .vgpr_spill_count: 0
    .wavefront_size: 64
amdhsa.target:   amdgcn-amd-amdhsa--gfx950
amdhsa.version:
  - 1
  - 2
...

	.end_amdgpu_metadata
